;; amdgpu-corpus repo=ROCm/rocFFT kind=compiled arch=gfx906 opt=O3
	.text
	.amdgcn_target "amdgcn-amd-amdhsa--gfx906"
	.amdhsa_code_object_version 6
	.protected	fft_rtc_fwd_len112_factors_16_7_wgs_256_tpt_16_half_ip_CI_unitstride_sbrr_dirReg ; -- Begin function fft_rtc_fwd_len112_factors_16_7_wgs_256_tpt_16_half_ip_CI_unitstride_sbrr_dirReg
	.globl	fft_rtc_fwd_len112_factors_16_7_wgs_256_tpt_16_half_ip_CI_unitstride_sbrr_dirReg
	.p2align	8
	.type	fft_rtc_fwd_len112_factors_16_7_wgs_256_tpt_16_half_ip_CI_unitstride_sbrr_dirReg,@function
fft_rtc_fwd_len112_factors_16_7_wgs_256_tpt_16_half_ip_CI_unitstride_sbrr_dirReg: ; @fft_rtc_fwd_len112_factors_16_7_wgs_256_tpt_16_half_ip_CI_unitstride_sbrr_dirReg
; %bb.0:
	s_load_dwordx2 s[2:3], s[4:5], 0x50
	s_load_dwordx4 s[8:11], s[4:5], 0x0
	s_load_dwordx2 s[12:13], s[4:5], 0x18
	v_lshrrev_b32_e32 v9, 4, v0
	v_mov_b32_e32 v3, 0
	v_mov_b32_e32 v1, 0
	s_waitcnt lgkmcnt(0)
	v_cmp_lt_u64_e64 s[0:1], s[10:11], 2
	v_lshl_or_b32 v5, s6, 4, v9
	v_mov_b32_e32 v6, v3
	s_and_b64 vcc, exec, s[0:1]
	v_mov_b32_e32 v2, 0
	s_cbranch_vccnz .LBB0_8
; %bb.1:
	s_load_dwordx2 s[0:1], s[4:5], 0x10
	s_add_u32 s6, s12, 8
	s_addc_u32 s7, s13, 0
	v_mov_b32_e32 v1, 0
	v_mov_b32_e32 v2, 0
	s_waitcnt lgkmcnt(0)
	s_add_u32 s14, s0, 8
	s_addc_u32 s15, s1, 0
	s_mov_b64 s[16:17], 1
.LBB0_2:                                ; =>This Inner Loop Header: Depth=1
	s_load_dwordx2 s[18:19], s[14:15], 0x0
                                        ; implicit-def: $vgpr7_vgpr8
	s_waitcnt lgkmcnt(0)
	v_or_b32_e32 v4, s19, v6
	v_cmp_ne_u64_e32 vcc, 0, v[3:4]
	s_and_saveexec_b64 s[0:1], vcc
	s_xor_b64 s[20:21], exec, s[0:1]
	s_cbranch_execz .LBB0_4
; %bb.3:                                ;   in Loop: Header=BB0_2 Depth=1
	v_cvt_f32_u32_e32 v4, s18
	v_cvt_f32_u32_e32 v7, s19
	s_sub_u32 s0, 0, s18
	s_subb_u32 s1, 0, s19
	v_mac_f32_e32 v4, 0x4f800000, v7
	v_rcp_f32_e32 v4, v4
	v_mul_f32_e32 v4, 0x5f7ffffc, v4
	v_mul_f32_e32 v7, 0x2f800000, v4
	v_trunc_f32_e32 v7, v7
	v_mac_f32_e32 v4, 0xcf800000, v7
	v_cvt_u32_f32_e32 v7, v7
	v_cvt_u32_f32_e32 v4, v4
	v_mul_lo_u32 v8, s0, v7
	v_mul_hi_u32 v10, s0, v4
	v_mul_lo_u32 v12, s1, v4
	v_mul_lo_u32 v11, s0, v4
	v_add_u32_e32 v8, v10, v8
	v_add_u32_e32 v8, v8, v12
	v_mul_hi_u32 v10, v4, v11
	v_mul_lo_u32 v12, v4, v8
	v_mul_hi_u32 v14, v4, v8
	v_mul_hi_u32 v13, v7, v11
	v_mul_lo_u32 v11, v7, v11
	v_mul_hi_u32 v15, v7, v8
	v_add_co_u32_e32 v10, vcc, v10, v12
	v_addc_co_u32_e32 v12, vcc, 0, v14, vcc
	v_mul_lo_u32 v8, v7, v8
	v_add_co_u32_e32 v10, vcc, v10, v11
	v_addc_co_u32_e32 v10, vcc, v12, v13, vcc
	v_addc_co_u32_e32 v11, vcc, 0, v15, vcc
	v_add_co_u32_e32 v8, vcc, v10, v8
	v_addc_co_u32_e32 v10, vcc, 0, v11, vcc
	v_add_co_u32_e32 v4, vcc, v4, v8
	v_addc_co_u32_e32 v7, vcc, v7, v10, vcc
	v_mul_lo_u32 v8, s0, v7
	v_mul_hi_u32 v10, s0, v4
	v_mul_lo_u32 v11, s1, v4
	v_mul_lo_u32 v12, s0, v4
	v_add_u32_e32 v8, v10, v8
	v_add_u32_e32 v8, v8, v11
	v_mul_lo_u32 v13, v4, v8
	v_mul_hi_u32 v14, v4, v12
	v_mul_hi_u32 v15, v4, v8
	;; [unrolled: 1-line block ×3, first 2 shown]
	v_mul_lo_u32 v12, v7, v12
	v_mul_hi_u32 v10, v7, v8
	v_add_co_u32_e32 v13, vcc, v14, v13
	v_addc_co_u32_e32 v14, vcc, 0, v15, vcc
	v_mul_lo_u32 v8, v7, v8
	v_add_co_u32_e32 v12, vcc, v13, v12
	v_addc_co_u32_e32 v11, vcc, v14, v11, vcc
	v_addc_co_u32_e32 v10, vcc, 0, v10, vcc
	v_add_co_u32_e32 v8, vcc, v11, v8
	v_addc_co_u32_e32 v10, vcc, 0, v10, vcc
	v_add_co_u32_e32 v4, vcc, v4, v8
	v_addc_co_u32_e32 v10, vcc, v7, v10, vcc
	v_mad_u64_u32 v[7:8], s[0:1], v5, v10, 0
	v_mul_hi_u32 v11, v5, v4
	v_add_co_u32_e32 v12, vcc, v11, v7
	v_addc_co_u32_e32 v13, vcc, 0, v8, vcc
	v_mad_u64_u32 v[7:8], s[0:1], v6, v4, 0
	v_mad_u64_u32 v[10:11], s[0:1], v6, v10, 0
	v_add_co_u32_e32 v4, vcc, v12, v7
	v_addc_co_u32_e32 v4, vcc, v13, v8, vcc
	v_addc_co_u32_e32 v7, vcc, 0, v11, vcc
	v_add_co_u32_e32 v4, vcc, v4, v10
	v_addc_co_u32_e32 v10, vcc, 0, v7, vcc
	v_mul_lo_u32 v11, s19, v4
	v_mul_lo_u32 v12, s18, v10
	v_mad_u64_u32 v[7:8], s[0:1], s18, v4, 0
	v_add3_u32 v8, v8, v12, v11
	v_sub_u32_e32 v11, v6, v8
	v_mov_b32_e32 v12, s19
	v_sub_co_u32_e32 v7, vcc, v5, v7
	v_subb_co_u32_e64 v11, s[0:1], v11, v12, vcc
	v_subrev_co_u32_e64 v12, s[0:1], s18, v7
	v_subbrev_co_u32_e64 v11, s[0:1], 0, v11, s[0:1]
	v_cmp_le_u32_e64 s[0:1], s19, v11
	v_cndmask_b32_e64 v13, 0, -1, s[0:1]
	v_cmp_le_u32_e64 s[0:1], s18, v12
	v_cndmask_b32_e64 v12, 0, -1, s[0:1]
	v_cmp_eq_u32_e64 s[0:1], s19, v11
	v_cndmask_b32_e64 v11, v13, v12, s[0:1]
	v_add_co_u32_e64 v12, s[0:1], 2, v4
	v_addc_co_u32_e64 v13, s[0:1], 0, v10, s[0:1]
	v_add_co_u32_e64 v14, s[0:1], 1, v4
	v_addc_co_u32_e64 v15, s[0:1], 0, v10, s[0:1]
	v_subb_co_u32_e32 v8, vcc, v6, v8, vcc
	v_cmp_ne_u32_e64 s[0:1], 0, v11
	v_cmp_le_u32_e32 vcc, s19, v8
	v_cndmask_b32_e64 v11, v15, v13, s[0:1]
	v_cndmask_b32_e64 v13, 0, -1, vcc
	v_cmp_le_u32_e32 vcc, s18, v7
	v_cndmask_b32_e64 v7, 0, -1, vcc
	v_cmp_eq_u32_e32 vcc, s19, v8
	v_cndmask_b32_e32 v7, v13, v7, vcc
	v_cmp_ne_u32_e32 vcc, 0, v7
	v_cndmask_b32_e64 v7, v14, v12, s[0:1]
	v_cndmask_b32_e32 v8, v10, v11, vcc
	v_cndmask_b32_e32 v7, v4, v7, vcc
.LBB0_4:                                ;   in Loop: Header=BB0_2 Depth=1
	s_andn2_saveexec_b64 s[0:1], s[20:21]
	s_cbranch_execz .LBB0_6
; %bb.5:                                ;   in Loop: Header=BB0_2 Depth=1
	v_cvt_f32_u32_e32 v4, s18
	s_sub_i32 s20, 0, s18
	v_rcp_iflag_f32_e32 v4, v4
	v_mul_f32_e32 v4, 0x4f7ffffe, v4
	v_cvt_u32_f32_e32 v4, v4
	v_mul_lo_u32 v7, s20, v4
	v_mul_hi_u32 v7, v4, v7
	v_add_u32_e32 v4, v4, v7
	v_mul_hi_u32 v4, v5, v4
	v_mul_lo_u32 v7, v4, s18
	v_add_u32_e32 v8, 1, v4
	v_sub_u32_e32 v7, v5, v7
	v_subrev_u32_e32 v10, s18, v7
	v_cmp_le_u32_e32 vcc, s18, v7
	v_cndmask_b32_e32 v7, v7, v10, vcc
	v_cndmask_b32_e32 v4, v4, v8, vcc
	v_add_u32_e32 v8, 1, v4
	v_cmp_le_u32_e32 vcc, s18, v7
	v_cndmask_b32_e32 v7, v4, v8, vcc
	v_mov_b32_e32 v8, v3
.LBB0_6:                                ;   in Loop: Header=BB0_2 Depth=1
	s_or_b64 exec, exec, s[0:1]
	v_mul_lo_u32 v4, v8, s18
	v_mul_lo_u32 v12, v7, s19
	v_mad_u64_u32 v[10:11], s[0:1], v7, s18, 0
	s_load_dwordx2 s[0:1], s[6:7], 0x0
	s_add_u32 s16, s16, 1
	v_add3_u32 v4, v11, v12, v4
	v_sub_co_u32_e32 v5, vcc, v5, v10
	v_subb_co_u32_e32 v4, vcc, v6, v4, vcc
	s_waitcnt lgkmcnt(0)
	v_mul_lo_u32 v4, s0, v4
	v_mul_lo_u32 v6, s1, v5
	v_mad_u64_u32 v[1:2], s[0:1], s0, v5, v[1:2]
	s_addc_u32 s17, s17, 0
	s_add_u32 s6, s6, 8
	v_add3_u32 v2, v6, v2, v4
	v_mov_b32_e32 v4, s10
	v_mov_b32_e32 v5, s11
	s_addc_u32 s7, s7, 0
	v_cmp_ge_u64_e32 vcc, s[16:17], v[4:5]
	s_add_u32 s14, s14, 8
	s_addc_u32 s15, s15, 0
	s_cbranch_vccnz .LBB0_9
; %bb.7:                                ;   in Loop: Header=BB0_2 Depth=1
	v_mov_b32_e32 v5, v7
	v_mov_b32_e32 v6, v8
	s_branch .LBB0_2
.LBB0_8:
	v_mov_b32_e32 v8, v6
	v_mov_b32_e32 v7, v5
.LBB0_9:
	s_lshl_b64 s[0:1], s[10:11], 3
	s_add_u32 s0, s12, s0
	s_addc_u32 s1, s13, s1
	s_load_dwordx2 s[6:7], s[0:1], 0x0
	s_load_dwordx2 s[10:11], s[4:5], 0x20
	v_and_b32_e32 v19, 15, v0
	v_lshlrev_b32_e32 v16, 2, v19
	s_waitcnt lgkmcnt(0)
	v_mul_lo_u32 v5, s6, v8
	v_mul_lo_u32 v6, s7, v7
	v_mad_u64_u32 v[3:4], s[0:1], s6, v7, v[1:2]
	v_mul_u32_u24_e32 v2, 0x70, v9
	v_cmp_gt_u64_e32 vcc, s[10:11], v[7:8]
	v_add3_u32 v4, v6, v4, v5
	v_lshlrev_b64 v[0:1], 2, v[3:4]
	v_lshlrev_b32_e32 v21, 2, v2
	s_and_saveexec_b64 s[4:5], vcc
	s_cbranch_execz .LBB0_11
; %bb.10:
	v_mov_b32_e32 v3, s3
	v_add_co_u32_e64 v4, s[0:1], s2, v0
	v_addc_co_u32_e64 v5, s[0:1], v3, v1, s[0:1]
	v_add_co_u32_e64 v3, s[0:1], v4, v16
	v_addc_co_u32_e64 v4, s[0:1], 0, v5, s[0:1]
	global_load_dword v5, v[3:4], off
	global_load_dword v6, v[3:4], off offset:64
	global_load_dword v7, v[3:4], off offset:128
	;; [unrolled: 1-line block ×6, first 2 shown]
	v_or_b32_e32 v2, v2, v19
	v_lshl_add_u32 v2, v2, 2, 0
	v_add3_u32 v3, 0, v21, v16
	s_waitcnt vmcnt(6)
	ds_write_b32 v2, v5
	s_waitcnt vmcnt(4)
	ds_write2_b32 v3, v6, v7 offset0:16 offset1:32
	s_waitcnt vmcnt(2)
	ds_write2_b32 v3, v8, v9 offset0:48 offset1:64
	;; [unrolled: 2-line block ×3, first 2 shown]
.LBB0_11:
	s_or_b64 exec, exec, s[4:5]
	v_add_u32_e32 v22, 0, v16
	v_add_u32_e32 v18, v22, v21
	s_waitcnt lgkmcnt(0)
	s_barrier
	v_add3_u32 v17, 0, v21, v16
	ds_read2_b32 v[2:3], v18 offset0:7 offset1:14
	ds_read2_b32 v[6:7], v18 offset0:21 offset1:28
	;; [unrolled: 1-line block ×6, first 2 shown]
	ds_read_b32 v20, v17
	ds_read_b32 v23, v18 offset:420
	ds_read2_b32 v[14:15], v18 offset0:91 offset1:98
	v_cmp_gt_u32_e64 s[0:1], 7, v19
	s_waitcnt lgkmcnt(0)
	s_barrier
	s_and_saveexec_b64 s[4:5], s[0:1]
	s_cbranch_execz .LBB0_13
; %bb.12:
	v_mul_u32_u24_e32 v24, 60, v19
	v_add3_u32 v21, v22, v24, v21
	v_pk_add_f16 v12, v2, v12 neg_lo:[0,1] neg_hi:[0,1]
	v_pk_add_f16 v14, v4, v14 neg_lo:[0,1] neg_hi:[0,1]
	;; [unrolled: 1-line block ×4, first 2 shown]
	v_sub_f16_sdwa v23, v10, v22 dst_sel:DWORD dst_unused:UNUSED_PAD src0_sel:DWORD src1_sel:WORD_1
	v_lshrrev_b32_e32 v24, 16, v10
	v_sub_f16_sdwa v25, v12, v14 dst_sel:DWORD dst_unused:UNUSED_PAD src0_sel:DWORD src1_sel:WORD_1
	v_lshrrev_b32_e32 v29, 16, v12
	s_mov_b32 s1, 0xb9a8
	v_pk_fma_f16 v8, v8, 2.0, v22 op_sel_hi:[1,0,1] neg_lo:[0,0,1] neg_hi:[0,0,1]
	v_add_f16_e32 v22, v24, v22
	v_fma_f16 v26, v12, 2.0, -v25
	v_fma_f16 v27, v10, 2.0, -v23
	v_add_f16_e32 v30, v29, v14
	v_pk_add_f16 v13, v3, v13 neg_lo:[0,1] neg_hi:[0,1]
	v_fma_f16 v24, v24, 2.0, -v22
	v_fma_f16 v28, v27, s1, v26
	v_fma_f16 v29, v29, 2.0, -v30
	v_pk_add_f16 v9, v20, v9 neg_lo:[0,1] neg_hi:[0,1]
	v_pk_add_f16 v15, v5, v15 neg_lo:[0,1] neg_hi:[0,1]
	;; [unrolled: 1-line block ×3, first 2 shown]
	s_movk_i32 s0, 0x39a8
	v_fma_f16 v28, v24, s1, v28
	v_fma_f16 v24, v24, s1, v29
	v_pk_fma_f16 v2, v2, 2.0, v12 op_sel_hi:[1,0,1] neg_lo:[0,0,1] neg_hi:[0,0,1]
	v_lshrrev_b32_e32 v12, 16, v13
	v_fma_f16 v24, v27, s0, v24
	v_pk_fma_f16 v6, v6, 2.0, v10 op_sel_hi:[1,0,1] neg_lo:[0,0,1] neg_hi:[0,0,1]
	v_pk_fma_f16 v4, v4, 2.0, v14 op_sel_hi:[1,0,1] neg_lo:[0,0,1] neg_hi:[0,0,1]
	;; [unrolled: 1-line block ×3, first 2 shown]
	v_sub_f16_sdwa v10, v13, v15 dst_sel:DWORD dst_unused:UNUSED_PAD src0_sel:DWORD src1_sel:WORD_1
	v_add_f16_e32 v14, v12, v15
	v_sub_f16_sdwa v15, v9, v11 dst_sel:DWORD dst_unused:UNUSED_PAD src0_sel:DWORD src1_sel:WORD_1
	v_lshrrev_b32_e32 v27, 16, v9
	v_pk_fma_f16 v7, v7, 2.0, v11 op_sel_hi:[1,0,1] neg_lo:[0,0,1] neg_hi:[0,0,1]
	v_pk_fma_f16 v3, v3, 2.0, v13 op_sel_hi:[1,0,1] neg_lo:[0,0,1] neg_hi:[0,0,1]
	v_add_f16_e32 v11, v27, v11
	v_fma_f16 v13, v13, 2.0, -v10
	v_fma_f16 v31, v9, 2.0, -v15
	;; [unrolled: 1-line block ×3, first 2 shown]
	v_fma_f16 v32, v13, s1, v31
	v_fma_f16 v27, v27, 2.0, -v11
	v_fma_f16 v32, v12, s1, v32
	v_fma_f16 v12, v12, s1, v27
	v_pk_fma_f16 v9, v20, 2.0, v9 op_sel_hi:[1,0,1] neg_lo:[0,0,1] neg_hi:[0,0,1]
	v_fma_f16 v12, v13, s0, v12
	s_mov_b32 s7, 0xbb64
	v_fma_f16 v13, v31, 2.0, -v32
	v_fma_f16 v26, v26, 2.0, -v28
	v_pk_add_f16 v7, v9, v7 neg_lo:[0,1] neg_hi:[0,1]
	v_pk_add_f16 v5, v3, v5 neg_lo:[0,1] neg_hi:[0,1]
	;; [unrolled: 1-line block ×4, first 2 shown]
	s_mov_b32 s6, 0xb61f
	v_fma_f16 v29, v29, 2.0, -v24
	v_fma_f16 v31, v26, s7, v13
	v_fma_f16 v27, v27, 2.0, -v12
	v_pk_fma_f16 v9, v9, 2.0, v7 op_sel_hi:[1,0,1] neg_lo:[0,0,1] neg_hi:[0,0,1]
	v_pk_fma_f16 v3, v3, 2.0, v5 op_sel_hi:[1,0,1] neg_lo:[0,0,1] neg_hi:[0,0,1]
	;; [unrolled: 1-line block ×4, first 2 shown]
	s_movk_i32 s10, 0x361f
	v_fma_f16 v31, v29, s6, v31
	v_fma_f16 v29, v29, s7, v27
	v_pk_add_f16 v3, v9, v3 neg_lo:[0,1] neg_hi:[0,1]
	v_pk_add_f16 v6, v2, v6 neg_lo:[0,1] neg_hi:[0,1]
	v_fma_f16 v26, v26, s10, v29
	v_pk_fma_f16 v9, v9, 2.0, v3 op_sel_hi:[1,0,1] neg_lo:[0,0,1] neg_hi:[0,0,1]
	v_pk_fma_f16 v2, v2, 2.0, v6 op_sel_hi:[1,0,1] neg_lo:[0,0,1] neg_hi:[0,0,1]
	v_fma_f16 v13, v13, 2.0, -v31
	v_fma_f16 v20, v27, 2.0, -v26
	v_pk_add_f16 v2, v9, v2 neg_lo:[0,1] neg_hi:[0,1]
	v_pack_b32_f16 v13, v13, v20
	v_pk_fma_f16 v9, v9, 2.0, v2 op_sel_hi:[1,0,1] neg_lo:[0,0,1] neg_hi:[0,0,1]
	ds_write2_b32 v21, v9, v13 offset1:1
	v_fma_f16 v9, v23, s0, v25
	v_fma_f16 v20, v10, s0, v15
	;; [unrolled: 1-line block ×8, first 2 shown]
	v_fma_f16 v14, v15, 2.0, -v20
	v_fma_f16 v15, v25, 2.0, -v9
	;; [unrolled: 1-line block ×3, first 2 shown]
	v_fma_f16 v23, v15, s6, v14
	v_fma_f16 v11, v11, 2.0, -v10
	v_fma_f16 v23, v22, s7, v23
	v_fma_f16 v22, v22, s6, v11
	s_movk_i32 s11, 0x3b64
	v_fma_f16 v15, v15, s11, v22
	v_sub_f16_sdwa v22, v4, v8 dst_sel:DWORD dst_unused:UNUSED_PAD src0_sel:DWORD src1_sel:WORD_1
	v_lshrrev_b32_e32 v25, 16, v4
	v_sub_f16_sdwa v27, v7, v5 dst_sel:DWORD dst_unused:UNUSED_PAD src0_sel:DWORD src1_sel:WORD_1
	v_lshrrev_b32_e32 v29, 16, v7
	v_add_f16_e32 v8, v25, v8
	v_add_f16_e32 v5, v29, v5
	v_fma_f16 v7, v7, 2.0, -v27
	v_fma_f16 v4, v4, 2.0, -v22
	v_fma_f16 v25, v25, 2.0, -v8
	v_fma_f16 v30, v4, s1, v7
	v_fma_f16 v29, v29, 2.0, -v5
	v_fma_f16 v30, v25, s1, v30
	v_fma_f16 v25, v25, s1, v29
	;; [unrolled: 1-line block ×3, first 2 shown]
	v_fma_f16 v14, v14, 2.0, -v23
	v_fma_f16 v11, v11, 2.0, -v15
	v_pack_b32_f16 v11, v14, v11
	v_fma_f16 v7, v7, 2.0, -v30
	v_fma_f16 v14, v29, 2.0, -v4
	v_pack_b32_f16 v7, v7, v14
	ds_write2_b32 v21, v7, v11 offset0:2 offset1:3
	v_fma_f16 v7, v28, s10, v32
	v_fma_f16 v7, v24, s7, v7
	v_fma_f16 v11, v24, s10, v12
	v_lshrrev_b32_e32 v24, 16, v3
	v_sub_f16_sdwa v14, v3, v6 dst_sel:DWORD dst_unused:UNUSED_PAD src0_sel:DWORD src1_sel:WORD_1
	v_add_f16_e32 v6, v24, v6
	v_fma_f16 v11, v28, s11, v11
	v_fma_f16 v3, v3, 2.0, -v14
	v_fma_f16 v24, v24, 2.0, -v6
	v_pack_b32_f16 v3, v3, v24
	v_fma_f16 v24, v32, 2.0, -v7
	v_fma_f16 v12, v12, 2.0, -v11
	v_pack_b32_f16 v12, v24, v12
	ds_write2_b32 v21, v3, v12 offset0:4 offset1:5
	v_fma_f16 v12, v13, s11, v10
	v_fma_f16 v3, v9, s11, v20
	;; [unrolled: 1-line block ×8, first 2 shown]
	v_fma_f16 v13, v20, 2.0, -v3
	v_fma_f16 v10, v10, 2.0, -v9
	v_pack_b32_f16 v10, v13, v10
	v_fma_f16 v13, v27, 2.0, -v12
	v_fma_f16 v5, v5, 2.0, -v8
	v_pack_b32_f16 v5, v13, v5
	ds_write2_b32 v21, v5, v10 offset0:6 offset1:7
	v_pack_b32_f16 v5, v31, v26
	ds_write2_b32 v21, v2, v5 offset0:8 offset1:9
	v_pack_b32_f16 v2, v23, v15
	v_pack_b32_f16 v4, v30, v4
	ds_write2_b32 v21, v4, v2 offset0:10 offset1:11
	v_pack_b32_f16 v2, v14, v6
	;; [unrolled: 3-line block ×3, first 2 shown]
	v_pack_b32_f16 v3, v12, v8
	ds_write2_b32 v21, v3, v2 offset0:14 offset1:15
.LBB0_13:
	s_or_b64 exec, exec, s[4:5]
	v_mul_u32_u24_e32 v2, 6, v19
	v_lshlrev_b32_e32 v8, 2, v2
	s_waitcnt lgkmcnt(0)
	s_barrier
	global_load_dwordx4 v[2:5], v8, s[8:9]
	global_load_dwordx2 v[6:7], v8, s[8:9] offset:16
	ds_read_b32 v14, v17
	ds_read2_b32 v[8:9], v18 offset0:16 offset1:32
	ds_read2_b32 v[10:11], v18 offset0:48 offset1:64
	;; [unrolled: 1-line block ×3, first 2 shown]
	s_movk_i32 s0, 0x2b26
	s_movk_i32 s1, 0x3b00
	s_waitcnt lgkmcnt(2)
	v_lshrrev_b32_e32 v15, 16, v8
	v_lshrrev_b32_e32 v19, 16, v9
	s_waitcnt lgkmcnt(1)
	v_lshrrev_b32_e32 v20, 16, v10
	v_lshrrev_b32_e32 v21, 16, v11
	;; [unrolled: 3-line block ×3, first 2 shown]
	s_mov_b32 s4, 0xbcab
	s_waitcnt vmcnt(0)
	s_barrier
	v_mul_f16_sdwa v25, v2, v8 dst_sel:DWORD dst_unused:UNUSED_PAD src0_sel:WORD_1 src1_sel:DWORD
	v_mul_f16_sdwa v24, v2, v15 dst_sel:DWORD dst_unused:UNUSED_PAD src0_sel:WORD_1 src1_sel:DWORD
	;; [unrolled: 1-line block ×11, first 2 shown]
	v_fma_f16 v15, v2, v15, v25
	v_mul_f16_sdwa v25, v7, v13 dst_sel:DWORD dst_unused:UNUSED_PAD src0_sel:WORD_1 src1_sel:DWORD
	v_fma_f16 v2, v2, v8, -v24
	v_fma_f16 v8, v3, v9, -v26
	v_fma_f16 v3, v3, v19, v27
	v_fma_f16 v9, v4, v10, -v28
	v_fma_f16 v4, v4, v20, v29
	;; [unrolled: 2-line block ×5, first 2 shown]
	v_add_f16_e32 v13, v2, v12
	v_add_f16_e32 v19, v15, v7
	v_sub_f16_e32 v2, v2, v12
	v_sub_f16_e32 v7, v15, v7
	v_add_f16_e32 v12, v8, v11
	v_add_f16_e32 v15, v3, v6
	v_sub_f16_e32 v8, v8, v11
	v_sub_f16_e32 v3, v3, v6
	v_add_f16_e32 v6, v9, v10
	v_add_f16_e32 v11, v4, v5
	v_sub_f16_e32 v9, v10, v9
	v_sub_f16_e32 v4, v5, v4
	v_add_f16_e32 v5, v12, v13
	v_add_f16_e32 v10, v15, v19
	v_sub_f16_e32 v20, v12, v13
	v_sub_f16_e32 v21, v15, v19
	v_sub_f16_e32 v13, v13, v6
	v_sub_f16_e32 v19, v19, v11
	;; [unrolled: 1-line block ×4, first 2 shown]
	v_add_f16_e32 v5, v6, v5
	v_add_f16_e32 v6, v11, v10
	v_mul_f16_e32 v10, 0x3a52, v13
	v_mul_f16_e32 v11, 0x3a52, v19
	;; [unrolled: 1-line block ×4, first 2 shown]
	v_fma_f16 v12, v12, s0, v10
	v_fma_f16 v15, v15, s0, v11
	s_movk_i32 s0, 0x39e0
	v_add_f16_e32 v22, v9, v8
	v_add_f16_e32 v23, v4, v3
	v_sub_f16_e32 v24, v9, v8
	v_sub_f16_e32 v25, v4, v3
	v_fma_f16 v13, v20, s0, -v13
	v_fma_f16 v19, v21, s0, -v19
	s_mov_b32 s0, 0xb9e0
	v_sub_f16_e32 v9, v2, v9
	v_sub_f16_e32 v4, v7, v4
	;; [unrolled: 1-line block ×4, first 2 shown]
	v_add_f16_e32 v2, v22, v2
	v_add_f16_e32 v7, v23, v7
	v_mul_f16_e32 v22, 0xb846, v24
	v_mul_f16_e32 v23, 0xb846, v25
	v_fma_f16 v10, v20, s0, -v10
	v_fma_f16 v11, v21, s0, -v11
	s_movk_i32 s0, 0x3574
	v_mul_f16_e32 v24, 0x3b00, v8
	v_mul_f16_e32 v25, 0x3b00, v3
	v_add_f16_e32 v26, v5, v14
	v_add_f16_sdwa v14, v6, v14 dst_sel:DWORD dst_unused:UNUSED_PAD src0_sel:DWORD src1_sel:WORD_1
	v_fma_f16 v20, v9, s0, v22
	v_fma_f16 v21, v4, s0, v23
	s_mov_b32 s0, 0xb574
	v_fma_f16 v5, v5, s4, v26
	v_fma_f16 v6, v6, s4, v14
	v_fma_f16 v8, v8, s1, -v22
	v_fma_f16 v3, v3, s1, -v23
	;; [unrolled: 1-line block ×4, first 2 shown]
	s_movk_i32 s0, 0x370e
	v_add_f16_e32 v12, v12, v5
	v_add_f16_e32 v15, v15, v6
	;; [unrolled: 1-line block ×6, first 2 shown]
	v_fma_f16 v10, v2, s0, v20
	v_fma_f16 v11, v7, s0, v21
	;; [unrolled: 1-line block ×6, first 2 shown]
	v_add_f16_e32 v7, v11, v12
	v_sub_f16_e32 v9, v15, v10
	v_add_f16_e32 v20, v4, v5
	v_sub_f16_e32 v21, v6, v2
	v_sub_f16_e32 v22, v13, v3
	v_add_f16_e32 v23, v8, v19
	v_add_f16_e32 v3, v3, v13
	v_sub_f16_e32 v8, v19, v8
	v_sub_f16_e32 v4, v5, v4
	v_add_f16_e32 v2, v2, v6
	v_sub_f16_e32 v5, v12, v11
	v_add_f16_e32 v6, v10, v15
	v_pack_b32_f16 v10, v26, v14
	v_pack_b32_f16 v7, v7, v9
	;; [unrolled: 1-line block ×4, first 2 shown]
	ds_write2_b32 v18, v10, v7 offset1:16
	v_pack_b32_f16 v7, v20, v21
	v_pack_b32_f16 v9, v22, v23
	ds_write2_b32 v18, v3, v2 offset0:64 offset1:80
	v_pack_b32_f16 v2, v5, v6
	ds_write2_b32 v18, v7, v9 offset0:32 offset1:48
	ds_write_b32 v18, v2 offset:384
	s_waitcnt lgkmcnt(0)
	s_barrier
	s_and_saveexec_b64 s[0:1], vcc
	s_cbranch_execz .LBB0_15
; %bb.14:
	ds_read2_b32 v[2:3], v17 offset1:16
	v_mov_b32_e32 v4, s3
	v_add_co_u32_e32 v0, vcc, s2, v0
	v_addc_co_u32_e32 v1, vcc, v4, v1, vcc
	ds_read2_b32 v[4:5], v17 offset0:32 offset1:48
	v_add_co_u32_e32 v0, vcc, v0, v16
	ds_read2_b32 v[6:7], v17 offset0:64 offset1:80
	v_addc_co_u32_e32 v1, vcc, 0, v1, vcc
	s_waitcnt lgkmcnt(2)
	global_store_dword v[0:1], v2, off
	ds_read_b32 v2, v17 offset:384
	global_store_dword v[0:1], v3, off offset:64
	s_waitcnt lgkmcnt(2)
	global_store_dword v[0:1], v4, off offset:128
	global_store_dword v[0:1], v5, off offset:192
	s_waitcnt lgkmcnt(1)
	global_store_dword v[0:1], v6, off offset:256
	;; [unrolled: 3-line block ×3, first 2 shown]
.LBB0_15:
	s_endpgm
	.section	.rodata,"a",@progbits
	.p2align	6, 0x0
	.amdhsa_kernel fft_rtc_fwd_len112_factors_16_7_wgs_256_tpt_16_half_ip_CI_unitstride_sbrr_dirReg
		.amdhsa_group_segment_fixed_size 0
		.amdhsa_private_segment_fixed_size 0
		.amdhsa_kernarg_size 88
		.amdhsa_user_sgpr_count 6
		.amdhsa_user_sgpr_private_segment_buffer 1
		.amdhsa_user_sgpr_dispatch_ptr 0
		.amdhsa_user_sgpr_queue_ptr 0
		.amdhsa_user_sgpr_kernarg_segment_ptr 1
		.amdhsa_user_sgpr_dispatch_id 0
		.amdhsa_user_sgpr_flat_scratch_init 0
		.amdhsa_user_sgpr_private_segment_size 0
		.amdhsa_uses_dynamic_stack 0
		.amdhsa_system_sgpr_private_segment_wavefront_offset 0
		.amdhsa_system_sgpr_workgroup_id_x 1
		.amdhsa_system_sgpr_workgroup_id_y 0
		.amdhsa_system_sgpr_workgroup_id_z 0
		.amdhsa_system_sgpr_workgroup_info 0
		.amdhsa_system_vgpr_workitem_id 0
		.amdhsa_next_free_vgpr 35
		.amdhsa_next_free_sgpr 22
		.amdhsa_reserve_vcc 1
		.amdhsa_reserve_flat_scratch 0
		.amdhsa_float_round_mode_32 0
		.amdhsa_float_round_mode_16_64 0
		.amdhsa_float_denorm_mode_32 3
		.amdhsa_float_denorm_mode_16_64 3
		.amdhsa_dx10_clamp 1
		.amdhsa_ieee_mode 1
		.amdhsa_fp16_overflow 0
		.amdhsa_exception_fp_ieee_invalid_op 0
		.amdhsa_exception_fp_denorm_src 0
		.amdhsa_exception_fp_ieee_div_zero 0
		.amdhsa_exception_fp_ieee_overflow 0
		.amdhsa_exception_fp_ieee_underflow 0
		.amdhsa_exception_fp_ieee_inexact 0
		.amdhsa_exception_int_div_zero 0
	.end_amdhsa_kernel
	.text
.Lfunc_end0:
	.size	fft_rtc_fwd_len112_factors_16_7_wgs_256_tpt_16_half_ip_CI_unitstride_sbrr_dirReg, .Lfunc_end0-fft_rtc_fwd_len112_factors_16_7_wgs_256_tpt_16_half_ip_CI_unitstride_sbrr_dirReg
                                        ; -- End function
	.section	.AMDGPU.csdata,"",@progbits
; Kernel info:
; codeLenInByte = 3580
; NumSgprs: 26
; NumVgprs: 35
; ScratchSize: 0
; MemoryBound: 0
; FloatMode: 240
; IeeeMode: 1
; LDSByteSize: 0 bytes/workgroup (compile time only)
; SGPRBlocks: 3
; VGPRBlocks: 8
; NumSGPRsForWavesPerEU: 26
; NumVGPRsForWavesPerEU: 35
; Occupancy: 7
; WaveLimiterHint : 1
; COMPUTE_PGM_RSRC2:SCRATCH_EN: 0
; COMPUTE_PGM_RSRC2:USER_SGPR: 6
; COMPUTE_PGM_RSRC2:TRAP_HANDLER: 0
; COMPUTE_PGM_RSRC2:TGID_X_EN: 1
; COMPUTE_PGM_RSRC2:TGID_Y_EN: 0
; COMPUTE_PGM_RSRC2:TGID_Z_EN: 0
; COMPUTE_PGM_RSRC2:TIDIG_COMP_CNT: 0
	.type	__hip_cuid_36996d513410939a,@object ; @__hip_cuid_36996d513410939a
	.section	.bss,"aw",@nobits
	.globl	__hip_cuid_36996d513410939a
__hip_cuid_36996d513410939a:
	.byte	0                               ; 0x0
	.size	__hip_cuid_36996d513410939a, 1

	.ident	"AMD clang version 19.0.0git (https://github.com/RadeonOpenCompute/llvm-project roc-6.4.0 25133 c7fe45cf4b819c5991fe208aaa96edf142730f1d)"
	.section	".note.GNU-stack","",@progbits
	.addrsig
	.addrsig_sym __hip_cuid_36996d513410939a
	.amdgpu_metadata
---
amdhsa.kernels:
  - .args:
      - .actual_access:  read_only
        .address_space:  global
        .offset:         0
        .size:           8
        .value_kind:     global_buffer
      - .offset:         8
        .size:           8
        .value_kind:     by_value
      - .actual_access:  read_only
        .address_space:  global
        .offset:         16
        .size:           8
        .value_kind:     global_buffer
      - .actual_access:  read_only
        .address_space:  global
        .offset:         24
        .size:           8
        .value_kind:     global_buffer
      - .offset:         32
        .size:           8
        .value_kind:     by_value
      - .actual_access:  read_only
        .address_space:  global
        .offset:         40
        .size:           8
        .value_kind:     global_buffer
      - .actual_access:  read_only
        .address_space:  global
        .offset:         48
        .size:           8
        .value_kind:     global_buffer
      - .offset:         56
        .size:           4
        .value_kind:     by_value
      - .actual_access:  read_only
        .address_space:  global
        .offset:         64
        .size:           8
        .value_kind:     global_buffer
      - .actual_access:  read_only
        .address_space:  global
        .offset:         72
        .size:           8
        .value_kind:     global_buffer
      - .address_space:  global
        .offset:         80
        .size:           8
        .value_kind:     global_buffer
    .group_segment_fixed_size: 0
    .kernarg_segment_align: 8
    .kernarg_segment_size: 88
    .language:       OpenCL C
    .language_version:
      - 2
      - 0
    .max_flat_workgroup_size: 256
    .name:           fft_rtc_fwd_len112_factors_16_7_wgs_256_tpt_16_half_ip_CI_unitstride_sbrr_dirReg
    .private_segment_fixed_size: 0
    .sgpr_count:     26
    .sgpr_spill_count: 0
    .symbol:         fft_rtc_fwd_len112_factors_16_7_wgs_256_tpt_16_half_ip_CI_unitstride_sbrr_dirReg.kd
    .uniform_work_group_size: 1
    .uses_dynamic_stack: false
    .vgpr_count:     35
    .vgpr_spill_count: 0
    .wavefront_size: 64
amdhsa.target:   amdgcn-amd-amdhsa--gfx906
amdhsa.version:
  - 1
  - 2
...

	.end_amdgpu_metadata
